;; amdgpu-corpus repo=ROCm/rocFFT kind=compiled arch=gfx906 opt=O3
	.text
	.amdgcn_target "amdgcn-amd-amdhsa--gfx906"
	.amdhsa_code_object_version 6
	.protected	fft_rtc_fwd_len990_factors_2_3_3_5_11_wgs_110_tpt_110_dp_ip_CI_unitstride_sbrr_R2C_dirReg ; -- Begin function fft_rtc_fwd_len990_factors_2_3_3_5_11_wgs_110_tpt_110_dp_ip_CI_unitstride_sbrr_R2C_dirReg
	.globl	fft_rtc_fwd_len990_factors_2_3_3_5_11_wgs_110_tpt_110_dp_ip_CI_unitstride_sbrr_R2C_dirReg
	.p2align	8
	.type	fft_rtc_fwd_len990_factors_2_3_3_5_11_wgs_110_tpt_110_dp_ip_CI_unitstride_sbrr_R2C_dirReg,@function
fft_rtc_fwd_len990_factors_2_3_3_5_11_wgs_110_tpt_110_dp_ip_CI_unitstride_sbrr_R2C_dirReg: ; @fft_rtc_fwd_len990_factors_2_3_3_5_11_wgs_110_tpt_110_dp_ip_CI_unitstride_sbrr_R2C_dirReg
; %bb.0:
	s_load_dwordx2 s[12:13], s[4:5], 0x50
	s_load_dwordx4 s[8:11], s[4:5], 0x0
	s_load_dwordx2 s[2:3], s[4:5], 0x18
	v_mul_u32_u24_e32 v1, 0x254, v0
	v_add_u32_sdwa v5, s6, v1 dst_sel:DWORD dst_unused:UNUSED_PAD src0_sel:DWORD src1_sel:WORD_1
	v_mov_b32_e32 v3, 0
	s_waitcnt lgkmcnt(0)
	v_cmp_lt_u64_e64 s[0:1], s[10:11], 2
	v_mov_b32_e32 v1, 0
	v_mov_b32_e32 v6, v3
	s_and_b64 vcc, exec, s[0:1]
	v_mov_b32_e32 v2, 0
	s_cbranch_vccnz .LBB0_8
; %bb.1:
	s_load_dwordx2 s[0:1], s[4:5], 0x10
	s_add_u32 s6, s2, 8
	s_addc_u32 s7, s3, 0
	v_mov_b32_e32 v1, 0
	v_mov_b32_e32 v2, 0
	s_waitcnt lgkmcnt(0)
	s_add_u32 s14, s0, 8
	s_addc_u32 s15, s1, 0
	s_mov_b64 s[16:17], 1
.LBB0_2:                                ; =>This Inner Loop Header: Depth=1
	s_load_dwordx2 s[18:19], s[14:15], 0x0
                                        ; implicit-def: $vgpr7_vgpr8
	s_waitcnt lgkmcnt(0)
	v_or_b32_e32 v4, s19, v6
	v_cmp_ne_u64_e32 vcc, 0, v[3:4]
	s_and_saveexec_b64 s[0:1], vcc
	s_xor_b64 s[20:21], exec, s[0:1]
	s_cbranch_execz .LBB0_4
; %bb.3:                                ;   in Loop: Header=BB0_2 Depth=1
	v_cvt_f32_u32_e32 v4, s18
	v_cvt_f32_u32_e32 v7, s19
	s_sub_u32 s0, 0, s18
	s_subb_u32 s1, 0, s19
	v_mac_f32_e32 v4, 0x4f800000, v7
	v_rcp_f32_e32 v4, v4
	v_mul_f32_e32 v4, 0x5f7ffffc, v4
	v_mul_f32_e32 v7, 0x2f800000, v4
	v_trunc_f32_e32 v7, v7
	v_mac_f32_e32 v4, 0xcf800000, v7
	v_cvt_u32_f32_e32 v7, v7
	v_cvt_u32_f32_e32 v4, v4
	v_mul_lo_u32 v8, s0, v7
	v_mul_hi_u32 v9, s0, v4
	v_mul_lo_u32 v11, s1, v4
	v_mul_lo_u32 v10, s0, v4
	v_add_u32_e32 v8, v9, v8
	v_add_u32_e32 v8, v8, v11
	v_mul_hi_u32 v9, v4, v10
	v_mul_lo_u32 v11, v4, v8
	v_mul_hi_u32 v13, v4, v8
	v_mul_hi_u32 v12, v7, v10
	v_mul_lo_u32 v10, v7, v10
	v_mul_hi_u32 v14, v7, v8
	v_add_co_u32_e32 v9, vcc, v9, v11
	v_addc_co_u32_e32 v11, vcc, 0, v13, vcc
	v_mul_lo_u32 v8, v7, v8
	v_add_co_u32_e32 v9, vcc, v9, v10
	v_addc_co_u32_e32 v9, vcc, v11, v12, vcc
	v_addc_co_u32_e32 v10, vcc, 0, v14, vcc
	v_add_co_u32_e32 v8, vcc, v9, v8
	v_addc_co_u32_e32 v9, vcc, 0, v10, vcc
	v_add_co_u32_e32 v4, vcc, v4, v8
	v_addc_co_u32_e32 v7, vcc, v7, v9, vcc
	v_mul_lo_u32 v8, s0, v7
	v_mul_hi_u32 v9, s0, v4
	v_mul_lo_u32 v10, s1, v4
	v_mul_lo_u32 v11, s0, v4
	v_add_u32_e32 v8, v9, v8
	v_add_u32_e32 v8, v8, v10
	v_mul_lo_u32 v12, v4, v8
	v_mul_hi_u32 v13, v4, v11
	v_mul_hi_u32 v14, v4, v8
	;; [unrolled: 1-line block ×3, first 2 shown]
	v_mul_lo_u32 v11, v7, v11
	v_mul_hi_u32 v9, v7, v8
	v_add_co_u32_e32 v12, vcc, v13, v12
	v_addc_co_u32_e32 v13, vcc, 0, v14, vcc
	v_mul_lo_u32 v8, v7, v8
	v_add_co_u32_e32 v11, vcc, v12, v11
	v_addc_co_u32_e32 v10, vcc, v13, v10, vcc
	v_addc_co_u32_e32 v9, vcc, 0, v9, vcc
	v_add_co_u32_e32 v8, vcc, v10, v8
	v_addc_co_u32_e32 v9, vcc, 0, v9, vcc
	v_add_co_u32_e32 v4, vcc, v4, v8
	v_addc_co_u32_e32 v9, vcc, v7, v9, vcc
	v_mad_u64_u32 v[7:8], s[0:1], v5, v9, 0
	v_mul_hi_u32 v10, v5, v4
	v_add_co_u32_e32 v11, vcc, v10, v7
	v_addc_co_u32_e32 v12, vcc, 0, v8, vcc
	v_mad_u64_u32 v[7:8], s[0:1], v6, v4, 0
	v_mad_u64_u32 v[9:10], s[0:1], v6, v9, 0
	v_add_co_u32_e32 v4, vcc, v11, v7
	v_addc_co_u32_e32 v4, vcc, v12, v8, vcc
	v_addc_co_u32_e32 v7, vcc, 0, v10, vcc
	v_add_co_u32_e32 v4, vcc, v4, v9
	v_addc_co_u32_e32 v9, vcc, 0, v7, vcc
	v_mul_lo_u32 v10, s19, v4
	v_mul_lo_u32 v11, s18, v9
	v_mad_u64_u32 v[7:8], s[0:1], s18, v4, 0
	v_add3_u32 v8, v8, v11, v10
	v_sub_u32_e32 v10, v6, v8
	v_mov_b32_e32 v11, s19
	v_sub_co_u32_e32 v7, vcc, v5, v7
	v_subb_co_u32_e64 v10, s[0:1], v10, v11, vcc
	v_subrev_co_u32_e64 v11, s[0:1], s18, v7
	v_subbrev_co_u32_e64 v10, s[0:1], 0, v10, s[0:1]
	v_cmp_le_u32_e64 s[0:1], s19, v10
	v_cndmask_b32_e64 v12, 0, -1, s[0:1]
	v_cmp_le_u32_e64 s[0:1], s18, v11
	v_cndmask_b32_e64 v11, 0, -1, s[0:1]
	v_cmp_eq_u32_e64 s[0:1], s19, v10
	v_cndmask_b32_e64 v10, v12, v11, s[0:1]
	v_add_co_u32_e64 v11, s[0:1], 2, v4
	v_addc_co_u32_e64 v12, s[0:1], 0, v9, s[0:1]
	v_add_co_u32_e64 v13, s[0:1], 1, v4
	v_addc_co_u32_e64 v14, s[0:1], 0, v9, s[0:1]
	v_subb_co_u32_e32 v8, vcc, v6, v8, vcc
	v_cmp_ne_u32_e64 s[0:1], 0, v10
	v_cmp_le_u32_e32 vcc, s19, v8
	v_cndmask_b32_e64 v10, v14, v12, s[0:1]
	v_cndmask_b32_e64 v12, 0, -1, vcc
	v_cmp_le_u32_e32 vcc, s18, v7
	v_cndmask_b32_e64 v7, 0, -1, vcc
	v_cmp_eq_u32_e32 vcc, s19, v8
	v_cndmask_b32_e32 v7, v12, v7, vcc
	v_cmp_ne_u32_e32 vcc, 0, v7
	v_cndmask_b32_e64 v7, v13, v11, s[0:1]
	v_cndmask_b32_e32 v8, v9, v10, vcc
	v_cndmask_b32_e32 v7, v4, v7, vcc
.LBB0_4:                                ;   in Loop: Header=BB0_2 Depth=1
	s_andn2_saveexec_b64 s[0:1], s[20:21]
	s_cbranch_execz .LBB0_6
; %bb.5:                                ;   in Loop: Header=BB0_2 Depth=1
	v_cvt_f32_u32_e32 v4, s18
	s_sub_i32 s20, 0, s18
	v_rcp_iflag_f32_e32 v4, v4
	v_mul_f32_e32 v4, 0x4f7ffffe, v4
	v_cvt_u32_f32_e32 v4, v4
	v_mul_lo_u32 v7, s20, v4
	v_mul_hi_u32 v7, v4, v7
	v_add_u32_e32 v4, v4, v7
	v_mul_hi_u32 v4, v5, v4
	v_mul_lo_u32 v7, v4, s18
	v_add_u32_e32 v8, 1, v4
	v_sub_u32_e32 v7, v5, v7
	v_subrev_u32_e32 v9, s18, v7
	v_cmp_le_u32_e32 vcc, s18, v7
	v_cndmask_b32_e32 v7, v7, v9, vcc
	v_cndmask_b32_e32 v4, v4, v8, vcc
	v_add_u32_e32 v8, 1, v4
	v_cmp_le_u32_e32 vcc, s18, v7
	v_cndmask_b32_e32 v7, v4, v8, vcc
	v_mov_b32_e32 v8, v3
.LBB0_6:                                ;   in Loop: Header=BB0_2 Depth=1
	s_or_b64 exec, exec, s[0:1]
	v_mul_lo_u32 v4, v8, s18
	v_mul_lo_u32 v11, v7, s19
	v_mad_u64_u32 v[9:10], s[0:1], v7, s18, 0
	s_load_dwordx2 s[0:1], s[6:7], 0x0
	s_add_u32 s16, s16, 1
	v_add3_u32 v4, v10, v11, v4
	v_sub_co_u32_e32 v5, vcc, v5, v9
	v_subb_co_u32_e32 v4, vcc, v6, v4, vcc
	s_waitcnt lgkmcnt(0)
	v_mul_lo_u32 v4, s0, v4
	v_mul_lo_u32 v6, s1, v5
	v_mad_u64_u32 v[1:2], s[0:1], s0, v5, v[1:2]
	s_addc_u32 s17, s17, 0
	s_add_u32 s6, s6, 8
	v_add3_u32 v2, v6, v2, v4
	v_mov_b32_e32 v4, s10
	v_mov_b32_e32 v5, s11
	s_addc_u32 s7, s7, 0
	v_cmp_ge_u64_e32 vcc, s[16:17], v[4:5]
	s_add_u32 s14, s14, 8
	s_addc_u32 s15, s15, 0
	s_cbranch_vccnz .LBB0_9
; %bb.7:                                ;   in Loop: Header=BB0_2 Depth=1
	v_mov_b32_e32 v5, v7
	v_mov_b32_e32 v6, v8
	s_branch .LBB0_2
.LBB0_8:
	v_mov_b32_e32 v8, v6
	v_mov_b32_e32 v7, v5
.LBB0_9:
	s_lshl_b64 s[0:1], s[10:11], 3
	s_add_u32 s0, s2, s0
	s_addc_u32 s1, s3, s1
	s_load_dwordx2 s[2:3], s[0:1], 0x0
	s_load_dwordx2 s[6:7], s[4:5], 0x20
                                        ; implicit-def: $vgpr48
                                        ; implicit-def: $vgpr51
                                        ; implicit-def: $vgpr50
	s_waitcnt lgkmcnt(0)
	v_mad_u64_u32 v[1:2], s[0:1], s2, v7, v[1:2]
	s_mov_b32 s0, 0x253c826
	v_mul_lo_u32 v3, s2, v8
	v_mul_lo_u32 v4, s3, v7
	v_mul_hi_u32 v5, v0, s0
	v_cmp_gt_u64_e64 s[0:1], s[6:7], v[7:8]
	v_cmp_le_u64_e32 vcc, s[6:7], v[7:8]
	v_add3_u32 v2, v4, v2, v3
	v_mul_u32_u24_e32 v3, 0x6e, v5
	v_sub_u32_e32 v44, v0, v3
	s_and_saveexec_b64 s[2:3], vcc
	s_xor_b64 s[2:3], exec, s[2:3]
; %bb.10:
	v_add_u32_e32 v48, 0x6e, v44
	v_add_u32_e32 v51, 0xdc, v44
	;; [unrolled: 1-line block ×3, first 2 shown]
; %bb.11:
	s_or_saveexec_b64 s[2:3], s[2:3]
	v_lshlrev_b64 v[46:47], 4, v[1:2]
	s_xor_b64 exec, exec, s[2:3]
	s_cbranch_execz .LBB0_13
; %bb.12:
	v_mov_b32_e32 v45, 0
	v_mov_b32_e32 v0, s13
	v_add_co_u32_e32 v2, vcc, s12, v46
	v_addc_co_u32_e32 v3, vcc, v0, v47, vcc
	v_lshlrev_b64 v[0:1], 4, v[44:45]
	s_movk_i32 s4, 0x1000
	v_add_co_u32_e32 v23, vcc, v2, v0
	v_addc_co_u32_e32 v24, vcc, v3, v1, vcc
	v_add_co_u32_e32 v25, vcc, s4, v23
	v_addc_co_u32_e32 v26, vcc, 0, v24, vcc
	;; [unrolled: 2-line block ×3, first 2 shown]
	v_add_co_u32_e32 v38, vcc, 0x3000, v23
	global_load_dwordx4 v[0:3], v[23:24], off
	global_load_dwordx4 v[4:7], v[23:24], off offset:1760
	global_load_dwordx4 v[8:11], v[23:24], off offset:3520
	;; [unrolled: 1-line block ×4, first 2 shown]
	s_nop 0
	global_load_dwordx4 v[20:23], v[36:37], off offset:608
	v_addc_co_u32_e32 v39, vcc, 0, v24, vcc
	global_load_dwordx4 v[24:27], v[36:37], off offset:2368
	global_load_dwordx4 v[28:31], v[38:39], off offset:32
	;; [unrolled: 1-line block ×3, first 2 shown]
	v_lshl_add_u32 v36, v44, 4, 0
	v_add_u32_e32 v48, 0x6e, v44
	v_add_u32_e32 v51, 0xdc, v44
	;; [unrolled: 1-line block ×3, first 2 shown]
	s_waitcnt vmcnt(8)
	ds_write_b128 v36, v[0:3]
	s_waitcnt vmcnt(7)
	ds_write_b128 v36, v[4:7] offset:1760
	s_waitcnt vmcnt(6)
	ds_write_b128 v36, v[8:11] offset:3520
	;; [unrolled: 2-line block ×8, first 2 shown]
.LBB0_13:
	s_or_b64 exec, exec, s[2:3]
	v_lshlrev_b32_e32 v45, 4, v44
	v_add_u32_e32 v92, 0, v45
	s_waitcnt lgkmcnt(0)
	s_barrier
	ds_read_b128 v[0:3], v92 offset:7920
	ds_read_b128 v[8:11], v92
	ds_read_b128 v[12:15], v92 offset:1760
	ds_read_b128 v[4:7], v92 offset:7040
	;; [unrolled: 1-line block ×3, first 2 shown]
	v_lshl_add_u32 v94, v51, 5, 0
	s_waitcnt lgkmcnt(3)
	v_add_f64 v[20:21], v[8:9], -v[0:1]
	v_add_f64 v[22:23], v[10:11], -v[2:3]
	ds_read_b128 v[0:3], v92 offset:11440
	ds_read_b128 v[24:27], v92 offset:3520
	;; [unrolled: 1-line block ×4, first 2 shown]
	s_waitcnt lgkmcnt(4)
	v_add_f64 v[16:17], v[12:13], -v[16:17]
	v_add_f64 v[18:19], v[14:15], -v[18:19]
	v_lshl_add_u32 v93, v50, 5, 0
	s_waitcnt lgkmcnt(2)
	v_add_f64 v[36:37], v[24:25], -v[0:1]
	v_add_f64 v[38:39], v[26:27], -v[2:3]
	s_waitcnt lgkmcnt(0)
	v_add_f64 v[32:33], v[28:29], -v[32:33]
	v_add_f64 v[34:35], v[30:31], -v[34:35]
	ds_read_b128 v[0:3], v92 offset:14960
	v_fma_f64 v[40:41], v[8:9], 2.0, -v[20:21]
	v_fma_f64 v[42:43], v[10:11], 2.0, -v[22:23]
	;; [unrolled: 1-line block ×8, first 2 shown]
	s_waitcnt lgkmcnt(0)
	v_add_f64 v[0:1], v[4:5], -v[0:1]
	v_add_f64 v[2:3], v[6:7], -v[2:3]
	v_add_u32_e32 v8, v92, v45
	s_barrier
	ds_write_b128 v8, v[40:43]
	ds_write_b128 v8, v[20:23] offset:16
	v_lshl_add_u32 v40, v48, 5, 0
	v_cmp_gt_u32_e32 vcc, 55, v44
	ds_write_b128 v40, v[9:12]
	ds_write_b128 v40, v[16:19] offset:16
	ds_write_b128 v94, v[24:27]
	ds_write_b128 v94, v[36:39] offset:16
	;; [unrolled: 2-line block ×3, first 2 shown]
	s_and_saveexec_b64 s[2:3], vcc
	s_cbranch_execz .LBB0_15
; %bb.14:
	v_fma_f64 v[6:7], v[6:7], 2.0, -v[2:3]
	v_fma_f64 v[4:5], v[4:5], 2.0, -v[0:1]
	ds_write_b128 v8, v[4:7] offset:14080
	ds_write_b128 v8, v[0:3] offset:14096
.LBB0_15:
	s_or_b64 exec, exec, s[2:3]
	v_and_b32_e32 v41, 1, v44
	v_lshlrev_b32_e32 v12, 5, v41
	s_waitcnt lgkmcnt(0)
	s_barrier
	global_load_dwordx4 v[4:7], v12, s[8:9]
	global_load_dwordx4 v[8:11], v12, s[8:9] offset:16
	v_lshrrev_b32_e32 v37, 1, v48
	v_lshlrev_b32_e32 v49, 4, v50
	v_lshrrev_b32_e32 v38, 1, v51
	v_mul_lo_u32 v61, v37, 6
	v_lshlrev_b32_e32 v42, 4, v48
	ds_read_b128 v[12:15], v92 offset:10560
	ds_read_b128 v[16:19], v92 offset:8800
	;; [unrolled: 1-line block ×5, first 2 shown]
	ds_read_b128 v[32:35], v92
	v_lshlrev_b32_e32 v95, 4, v51
	v_lshrrev_b32_e32 v36, 1, v44
	v_sub_u32_e32 v43, v93, v49
	v_mul_lo_u32 v62, v38, 6
	v_sub_u32_e32 v80, v40, v42
	v_sub_u32_e32 v81, v94, v95
	v_mul_u32_u24_e32 v60, 6, v36
	ds_read_b128 v[36:39], v43
	ds_read_b128 v[52:55], v80
	;; [unrolled: 1-line block ×3, first 2 shown]
	s_movk_i32 s6, 0xab
	v_or_b32_e32 v60, v60, v41
	v_mul_lo_u16_sdwa v63, v44, s6 dst_sel:DWORD dst_unused:UNUSED_PAD src0_sel:BYTE_0 src1_sel:DWORD
	v_lshl_add_u32 v83, v60, 4, 0
	v_or_b32_e32 v60, v61, v41
	v_lshrrev_b16_e32 v82, 10, v63
	v_or_b32_e32 v41, v62, v41
	v_lshl_add_u32 v85, v60, 4, 0
	s_mov_b32 s2, 0xe8584caa
	s_mov_b32 s3, 0x3febb67a
	;; [unrolled: 1-line block ×4, first 2 shown]
	v_mul_lo_u16_e32 v84, 6, v82
	s_waitcnt vmcnt(0) lgkmcnt(0)
	s_barrier
	v_lshl_add_u32 v41, v41, 4, 0
	v_sub_u32_e32 v42, 0, v42
	v_add_u32_e32 v96, v40, v42
	v_mul_f64 v[60:61], v[38:39], v[6:7]
	v_mul_f64 v[62:63], v[36:37], v[6:7]
	;; [unrolled: 1-line block ×12, first 2 shown]
	v_fma_f64 v[36:37], v[36:37], v[4:5], -v[60:61]
	v_fma_f64 v[38:39], v[38:39], v[4:5], v[62:63]
	v_fma_f64 v[28:29], v[28:29], v[4:5], -v[64:65]
	v_fma_f64 v[30:31], v[30:31], v[4:5], v[66:67]
	;; [unrolled: 2-line block ×6, first 2 shown]
	v_add_f64 v[8:9], v[34:35], v[38:39]
	v_add_f64 v[66:67], v[52:53], v[28:29]
	v_add_f64 v[24:25], v[36:37], v[12:13]
	v_add_f64 v[26:27], v[38:39], -v[6:7]
	v_add_f64 v[38:39], v[38:39], v[6:7]
	v_add_f64 v[60:61], v[28:29], v[14:15]
	v_add_f64 v[62:63], v[30:31], v[18:19]
	v_add_f64 v[70:71], v[28:29], -v[14:15]
	;; [unrolled: 4-line block ×3, first 2 shown]
	v_add_f64 v[64:65], v[54:55], v[30:31]
	v_fma_f64 v[24:25], v[24:25], -0.5, v[32:33]
	v_fma_f64 v[32:33], v[38:39], -0.5, v[34:35]
	v_add_f64 v[68:69], v[58:59], v[4:5]
	v_add_f64 v[74:75], v[56:57], v[16:17]
	v_add_f64 v[30:31], v[30:31], -v[18:19]
	v_fma_f64 v[34:35], v[60:61], -0.5, v[52:53]
	v_fma_f64 v[38:39], v[62:63], -0.5, v[54:55]
	v_add_f64 v[72:73], v[4:5], -v[22:23]
	v_add_f64 v[78:79], v[16:17], -v[20:21]
	v_fma_f64 v[52:53], v[76:77], -0.5, v[56:57]
	v_fma_f64 v[54:55], v[28:29], -0.5, v[58:59]
	v_add_f64 v[6:7], v[8:9], v[6:7]
	v_add_f64 v[4:5], v[10:11], v[12:13]
	;; [unrolled: 1-line block ×3, first 2 shown]
	v_fma_f64 v[16:17], v[26:27], s[2:3], v[24:25]
	v_fma_f64 v[18:19], v[36:37], s[4:5], v[32:33]
	v_add_f64 v[8:9], v[66:67], v[14:15]
	v_add_f64 v[14:15], v[68:69], v[22:23]
	;; [unrolled: 1-line block ×3, first 2 shown]
	v_fma_f64 v[20:21], v[26:27], s[4:5], v[24:25]
	v_fma_f64 v[22:23], v[36:37], s[2:3], v[32:33]
	;; [unrolled: 1-line block ×10, first 2 shown]
	ds_write_b128 v83, v[4:7]
	ds_write_b128 v83, v[16:19] offset:32
	ds_write_b128 v83, v[20:23] offset:64
	ds_write_b128 v85, v[8:11]
	ds_write_b128 v85, v[24:27] offset:32
	ds_write_b128 v85, v[28:31] offset:64
	;; [unrolled: 3-line block ×3, first 2 shown]
	v_sub_u16_e32 v28, v44, v84
	v_mov_b32_e32 v12, 5
	v_lshlrev_b32_sdwa v13, v12, v28 dst_sel:DWORD dst_unused:UNUSED_PAD src0_sel:DWORD src1_sel:BYTE_0
	s_waitcnt lgkmcnt(0)
	s_barrier
	global_load_dwordx4 v[4:7], v13, s[8:9] offset:64
	global_load_dwordx4 v[8:11], v13, s[8:9] offset:80
	v_mul_lo_u16_sdwa v13, v48, s6 dst_sel:DWORD dst_unused:UNUSED_PAD src0_sel:BYTE_0 src1_sel:DWORD
	v_lshrrev_b16_e32 v29, 10, v13
	v_mul_lo_u16_e32 v13, 6, v29
	v_sub_u16_e32 v30, v48, v13
	v_lshlrev_b32_sdwa v20, v12, v30 dst_sel:DWORD dst_unused:UNUSED_PAD src0_sel:DWORD src1_sel:BYTE_0
	s_mov_b32 s6, 0xaaab
	global_load_dwordx4 v[12:15], v20, s[8:9] offset:64
	global_load_dwordx4 v[16:19], v20, s[8:9] offset:80
	v_mul_u32_u24_sdwa v20, v51, s6 dst_sel:DWORD dst_unused:UNUSED_PAD src0_sel:WORD_0 src1_sel:DWORD
	v_lshrrev_b32_e32 v31, 18, v20
	v_mul_lo_u16_e32 v20, 6, v31
	v_sub_u16_e32 v32, v51, v20
	v_lshlrev_b32_e32 v33, 5, v32
	global_load_dwordx4 v[20:23], v33, s[8:9] offset:64
	global_load_dwordx4 v[24:27], v33, s[8:9] offset:80
	v_mov_b32_e32 v41, 4
	v_mul_u32_u24_e32 v33, 0x120, v82
	v_mul_u32_u24_e32 v29, 0x120, v29
	;; [unrolled: 1-line block ×3, first 2 shown]
	v_lshlrev_b32_sdwa v28, v41, v28 dst_sel:DWORD dst_unused:UNUSED_PAD src0_sel:DWORD src1_sel:BYTE_0
	v_lshlrev_b32_sdwa v30, v41, v30 dst_sel:DWORD dst_unused:UNUSED_PAD src0_sel:DWORD src1_sel:BYTE_0
	v_lshlrev_b32_e32 v32, 4, v32
	v_add3_u32 v88, 0, v33, v28
	v_add3_u32 v89, 0, v29, v30
	;; [unrolled: 1-line block ×3, first 2 shown]
	ds_read_b128 v[28:31], v43
	ds_read_b128 v[32:35], v80
	ds_read_b128 v[36:39], v92 offset:10560
	ds_read_b128 v[52:55], v92 offset:8800
	;; [unrolled: 1-line block ×5, first 2 shown]
	ds_read_b128 v[68:71], v92
	ds_read_b128 v[72:75], v81
	s_waitcnt vmcnt(0) lgkmcnt(0)
	s_barrier
	v_mul_f64 v[76:77], v[30:31], v[6:7]
	v_mul_f64 v[6:7], v[28:29], v[6:7]
	;; [unrolled: 1-line block ×8, first 2 shown]
	v_fma_f64 v[28:29], v[28:29], v[4:5], -v[76:77]
	v_fma_f64 v[4:5], v[30:31], v[4:5], v[6:7]
	v_mul_f64 v[84:85], v[54:55], v[22:23]
	v_mul_f64 v[22:23], v[52:53], v[22:23]
	;; [unrolled: 1-line block ×4, first 2 shown]
	v_fma_f64 v[30:31], v[36:37], v[8:9], -v[78:79]
	v_fma_f64 v[6:7], v[38:39], v[8:9], v[10:11]
	v_fma_f64 v[8:9], v[64:65], v[12:13], -v[80:81]
	v_fma_f64 v[10:11], v[66:67], v[12:13], v[14:15]
	;; [unrolled: 2-line block ×5, first 2 shown]
	v_add_f64 v[24:25], v[28:29], v[30:31]
	v_add_f64 v[26:27], v[4:5], v[6:7]
	;; [unrolled: 1-line block ×5, first 2 shown]
	v_add_f64 v[58:59], v[28:29], -v[30:31]
	v_add_f64 v[60:61], v[10:11], -v[14:15]
	v_add_f64 v[10:11], v[10:11], v[14:15]
	v_add_f64 v[28:29], v[8:9], v[12:13]
	v_add_f64 v[62:63], v[8:9], -v[12:13]
	v_add_f64 v[8:9], v[74:75], v[18:19]
	v_add_f64 v[64:65], v[18:19], -v[22:23]
	v_add_f64 v[18:19], v[18:19], v[22:23]
	v_add_f64 v[76:77], v[16:17], v[20:21]
	;; [unrolled: 1-line block ×3, first 2 shown]
	v_add_f64 v[52:53], v[4:5], -v[6:7]
	v_add_f64 v[66:67], v[72:73], v[16:17]
	v_add_f64 v[78:79], v[16:17], -v[20:21]
	v_fma_f64 v[16:17], v[24:25], -0.5, v[68:69]
	v_fma_f64 v[68:69], v[26:27], -0.5, v[70:71]
	v_add_f64 v[26:27], v[54:55], v[14:15]
	v_add_f64 v[24:25], v[56:57], v[12:13]
	v_fma_f64 v[12:13], v[28:29], -0.5, v[32:33]
	v_fma_f64 v[14:15], v[10:11], -0.5, v[34:35]
	;; [unrolled: 1-line block ×4, first 2 shown]
	v_add_f64 v[6:7], v[36:37], v[6:7]
	v_add_f64 v[4:5], v[38:39], v[30:31]
	v_fma_f64 v[28:29], v[52:53], s[2:3], v[16:17]
	v_fma_f64 v[30:31], v[58:59], s[4:5], v[68:69]
	;; [unrolled: 1-line block ×6, first 2 shown]
	v_add_f64 v[10:11], v[8:9], v[22:23]
	v_add_f64 v[8:9], v[66:67], v[20:21]
	v_fma_f64 v[20:21], v[60:61], s[4:5], v[12:13]
	v_fma_f64 v[22:23], v[62:63], s[2:3], v[14:15]
	;; [unrolled: 1-line block ×6, first 2 shown]
	ds_write_b128 v88, v[4:7]
	ds_write_b128 v88, v[28:31] offset:96
	ds_write_b128 v88, v[32:35] offset:192
	ds_write_b128 v89, v[24:27]
	ds_write_b128 v89, v[36:39] offset:96
	ds_write_b128 v89, v[20:23] offset:192
	;; [unrolled: 3-line block ×3, first 2 shown]
	s_waitcnt lgkmcnt(0)
	s_barrier
	ds_read_b128 v[4:7], v92
	ds_read_b128 v[36:39], v92 offset:3168
	ds_read_b128 v[32:35], v92 offset:6336
	;; [unrolled: 1-line block ×4, first 2 shown]
	s_movk_i32 s2, 0x58
	v_cmp_gt_u32_e64 s[2:3], s2, v44
	s_and_saveexec_b64 s[4:5], s[2:3]
	s_cbranch_execz .LBB0_17
; %bb.16:
	ds_read_b128 v[20:23], v96
	ds_read_b128 v[8:11], v92 offset:4928
	ds_read_b128 v[12:15], v92 offset:8096
	;; [unrolled: 1-line block ×4, first 2 shown]
.LBB0_17:
	s_or_b64 exec, exec, s[4:5]
	v_mov_b32_e32 v43, 57
	v_mul_lo_u16_sdwa v40, v44, v43 dst_sel:DWORD dst_unused:UNUSED_PAD src0_sel:BYTE_0 src1_sel:DWORD
	v_lshrrev_b16_e32 v40, 10, v40
	v_mul_lo_u16_e32 v42, 18, v40
	v_sub_u16_e32 v42, v44, v42
	v_mov_b32_e32 v69, 6
	v_lshlrev_b32_sdwa v52, v69, v42 dst_sel:DWORD dst_unused:UNUSED_PAD src0_sel:DWORD src1_sel:BYTE_0
	global_load_dwordx4 v[53:56], v52, s[8:9] offset:272
	global_load_dwordx4 v[57:60], v52, s[8:9] offset:256
	;; [unrolled: 1-line block ×4, first 2 shown]
	v_mul_lo_u16_sdwa v43, v48, v43 dst_sel:DWORD dst_unused:UNUSED_PAD src0_sel:BYTE_0 src1_sel:DWORD
	v_lshrrev_b16_e32 v43, 10, v43
	v_mul_lo_u16_e32 v52, 18, v43
	v_sub_u16_e32 v52, v48, v52
	v_lshlrev_b32_sdwa v85, v69, v52 dst_sel:DWORD dst_unused:UNUSED_PAD src0_sel:DWORD src1_sel:BYTE_0
	global_load_dwordx4 v[69:72], v85, s[8:9] offset:256
	global_load_dwordx4 v[73:76], v85, s[8:9] offset:272
	;; [unrolled: 1-line block ×4, first 2 shown]
	s_mov_b32 s10, 0x134454ff
	s_mov_b32 s11, 0x3fee6f0e
	;; [unrolled: 1-line block ×10, first 2 shown]
	v_mul_u32_u24_e32 v40, 0x5a0, v40
	v_lshlrev_b32_sdwa v41, v41, v42 dst_sel:DWORD dst_unused:UNUSED_PAD src0_sel:DWORD src1_sel:BYTE_0
	v_add3_u32 v40, 0, v40, v41
	s_waitcnt vmcnt(0) lgkmcnt(0)
	s_barrier
	v_mul_f64 v[87:88], v[34:35], v[55:56]
	v_mul_f64 v[85:86], v[38:39], v[59:60]
	;; [unrolled: 1-line block ×16, first 2 shown]
	v_fma_f64 v[36:37], v[36:37], v[57:58], -v[85:86]
	v_fma_f64 v[38:39], v[38:39], v[57:58], v[59:60]
	v_fma_f64 v[32:33], v[32:33], v[53:54], -v[87:88]
	v_fma_f64 v[34:35], v[34:35], v[53:54], v[55:56]
	;; [unrolled: 2-line block ×8, first 2 shown]
	v_add_f64 v[0:1], v[4:5], v[36:37]
	v_add_f64 v[2:3], v[32:33], v[28:29]
	v_add_f64 v[12:13], v[36:37], -v[32:33]
	v_add_f64 v[14:15], v[24:25], -v[28:29]
	v_add_f64 v[16:17], v[36:37], v[24:25]
	v_add_f64 v[18:19], v[32:33], -v[36:37]
	v_add_f64 v[69:70], v[28:29], -v[24:25]
	v_add_f64 v[71:72], v[6:7], v[38:39]
	v_add_f64 v[73:74], v[34:35], v[30:31]
	v_add_f64 v[8:9], v[38:39], -v[26:27]
	v_add_f64 v[36:37], v[36:37], -v[24:25]
	;; [unrolled: 1-line block ×3, first 2 shown]
	v_add_f64 v[81:82], v[38:39], v[26:27]
	v_add_f64 v[38:39], v[34:35], -v[38:39]
	v_add_f64 v[83:84], v[30:31], -v[26:27]
	v_add_f64 v[85:86], v[20:21], v[53:54]
	v_add_f64 v[87:88], v[57:58], v[61:62]
	;; [unrolled: 1-line block ×4, first 2 shown]
	v_fma_f64 v[2:3], v[2:3], -0.5, v[4:5]
	v_add_f64 v[12:13], v[12:13], v[14:15]
	v_fma_f64 v[4:5], v[16:17], -0.5, v[4:5]
	v_add_f64 v[14:15], v[18:19], v[69:70]
	v_add_f64 v[16:17], v[71:72], v[34:35]
	v_fma_f64 v[18:19], v[73:74], -0.5, v[6:7]
	v_add_f64 v[10:11], v[34:35], -v[30:31]
	v_add_f64 v[75:76], v[32:33], -v[28:29]
	;; [unrolled: 1-line block ×4, first 2 shown]
	v_fma_f64 v[6:7], v[81:82], -0.5, v[6:7]
	v_add_f64 v[34:35], v[38:39], v[83:84]
	v_add_f64 v[38:39], v[85:86], v[57:58]
	v_fma_f64 v[69:70], v[87:88], -0.5, v[20:21]
	v_fma_f64 v[73:74], v[103:104], -0.5, v[20:21]
	v_add_f64 v[0:1], v[0:1], v[28:29]
	v_fma_f64 v[20:21], v[8:9], s[10:11], v[2:3]
	v_fma_f64 v[2:3], v[8:9], s[14:15], v[2:3]
	v_add_f64 v[16:17], v[16:17], v[30:31]
	v_fma_f64 v[30:31], v[36:37], s[14:15], v[18:19]
	v_fma_f64 v[18:19], v[36:37], s[10:11], v[18:19]
	v_add_f64 v[97:98], v[59:60], -v[63:64]
	v_add_f64 v[99:100], v[53:54], -v[57:58]
	;; [unrolled: 1-line block ×3, first 2 shown]
	v_add_f64 v[32:33], v[77:78], v[79:80]
	v_fma_f64 v[28:29], v[10:11], s[14:15], v[4:5]
	v_fma_f64 v[4:5], v[10:11], s[10:11], v[4:5]
	;; [unrolled: 1-line block ×4, first 2 shown]
	v_add_f64 v[38:39], v[38:39], v[61:62]
	v_fma_f64 v[79:80], v[89:90], s[10:11], v[69:70]
	v_add_f64 v[0:1], v[0:1], v[24:25]
	v_fma_f64 v[24:25], v[10:11], s[4:5], v[20:21]
	v_fma_f64 v[10:11], v[10:11], s[16:17], v[2:3]
	v_add_f64 v[2:3], v[16:17], v[26:27]
	v_fma_f64 v[26:27], v[75:76], s[16:17], v[30:31]
	v_fma_f64 v[18:19], v[75:76], s[4:5], v[18:19]
	v_add_f64 v[105:106], v[59:60], v[63:64]
	v_add_f64 v[71:72], v[99:100], v[101:102]
	v_fma_f64 v[28:29], v[8:9], s[4:5], v[28:29]
	v_fma_f64 v[81:82], v[8:9], s[16:17], v[4:5]
	v_fma_f64 v[30:31], v[36:37], s[16:17], v[77:78]
	v_fma_f64 v[36:37], v[36:37], s[4:5], v[6:7]
	v_add_f64 v[20:21], v[38:39], v[65:66]
	v_fma_f64 v[38:39], v[97:98], s[4:5], v[79:80]
	v_fma_f64 v[6:7], v[32:33], s[6:7], v[26:27]
	;; [unrolled: 1-line block ×3, first 2 shown]
	v_add_f64 v[32:33], v[55:56], v[67:68]
	v_fma_f64 v[4:5], v[12:13], s[6:7], v[24:25]
	v_fma_f64 v[16:17], v[12:13], s[6:7], v[10:11]
	;; [unrolled: 1-line block ×7, first 2 shown]
	v_add_f64 v[30:31], v[57:58], -v[53:54]
	v_add_f64 v[34:35], v[61:62], -v[65:66]
	v_add_f64 v[36:37], v[22:23], v[55:56]
	v_fma_f64 v[38:39], v[105:106], -0.5, v[22:23]
	v_add_f64 v[53:54], v[53:54], -v[65:66]
	v_add_f64 v[57:58], v[57:58], -v[61:62]
	v_fma_f64 v[22:23], v[32:33], -0.5, v[22:23]
	v_fma_f64 v[26:27], v[89:90], s[14:15], v[69:70]
	v_fma_f64 v[28:29], v[97:98], s[14:15], v[73:74]
	v_add_f64 v[30:31], v[30:31], v[34:35]
	v_fma_f64 v[32:33], v[97:98], s[10:11], v[73:74]
	v_add_f64 v[34:35], v[36:37], v[59:60]
	v_fma_f64 v[36:37], v[53:54], s[14:15], v[38:39]
	v_add_f64 v[61:62], v[55:56], -v[59:60]
	v_add_f64 v[65:66], v[67:68], -v[63:64]
	v_fma_f64 v[38:39], v[53:54], s[10:11], v[38:39]
	v_fma_f64 v[69:70], v[57:58], s[10:11], v[22:23]
	v_add_f64 v[55:56], v[59:60], -v[55:56]
	v_add_f64 v[59:60], v[63:64], -v[67:68]
	v_fma_f64 v[22:23], v[57:58], s[14:15], v[22:23]
	v_fma_f64 v[26:27], v[97:98], s[16:17], v[26:27]
	v_fma_f64 v[28:29], v[89:90], s[4:5], v[28:29]
	v_fma_f64 v[32:33], v[89:90], s[16:17], v[32:33]
	v_add_f64 v[34:35], v[34:35], v[63:64]
	v_fma_f64 v[63:64], v[57:58], s[16:17], v[36:37]
	v_add_f64 v[61:62], v[61:62], v[65:66]
	v_fma_f64 v[38:39], v[57:58], s[4:5], v[38:39]
	v_fma_f64 v[57:58], v[53:54], s[16:17], v[69:70]
	v_add_f64 v[55:56], v[55:56], v[59:60]
	v_fma_f64 v[53:54], v[53:54], s[4:5], v[22:23]
	v_fma_f64 v[36:37], v[71:72], s[6:7], v[26:27]
	;; [unrolled: 1-line block ×4, first 2 shown]
	v_add_f64 v[22:23], v[34:35], v[67:68]
	v_fma_f64 v[26:27], v[61:62], s[6:7], v[63:64]
	v_fma_f64 v[38:39], v[61:62], s[6:7], v[38:39]
	;; [unrolled: 1-line block ×4, first 2 shown]
	ds_write_b128 v40, v[0:3]
	ds_write_b128 v40, v[4:7] offset:288
	ds_write_b128 v40, v[8:11] offset:576
	;; [unrolled: 1-line block ×4, first 2 shown]
	s_and_saveexec_b64 s[4:5], s[2:3]
	s_cbranch_execz .LBB0_19
; %bb.18:
	v_mov_b32_e32 v41, 4
	v_mul_u32_u24_e32 v40, 0x5a0, v43
	v_lshlrev_b32_sdwa v41, v41, v52 dst_sel:DWORD dst_unused:UNUSED_PAD src0_sel:DWORD src1_sel:BYTE_0
	v_add3_u32 v40, 0, v40, v41
	ds_write_b128 v40, v[20:23]
	ds_write_b128 v40, v[24:27] offset:288
	ds_write_b128 v40, v[28:31] offset:576
	;; [unrolled: 1-line block ×4, first 2 shown]
.LBB0_19:
	s_or_b64 exec, exec, s[4:5]
	s_movk_i32 s2, 0x5a
	v_cmp_gt_u32_e64 s[2:3], s2, v44
	s_waitcnt lgkmcnt(0)
	s_barrier
	s_waitcnt lgkmcnt(0)
                                        ; implicit-def: $vgpr42_vgpr43
	s_and_saveexec_b64 s[4:5], s[2:3]
	s_cbranch_execz .LBB0_21
; %bb.20:
	ds_read_b128 v[0:3], v92
	ds_read_b128 v[4:7], v92 offset:1440
	ds_read_b128 v[8:11], v92 offset:2880
	;; [unrolled: 1-line block ×10, first 2 shown]
.LBB0_21:
	s_or_b64 exec, exec, s[4:5]
	s_waitcnt lgkmcnt(0)
	s_barrier
	s_and_saveexec_b64 s[4:5], s[2:3]
	s_cbranch_execz .LBB0_23
; %bb.22:
	v_add_u32_e32 v52, 0xffffffa6, v44
	v_cndmask_b32_e64 v52, v52, v44, s[2:3]
	v_mul_i32_i24_e32 v52, 10, v52
	v_mov_b32_e32 v53, 0
	v_lshlrev_b64 v[52:53], 4, v[52:53]
	v_mov_b32_e32 v54, s9
	v_add_co_u32_e64 v88, s[2:3], s8, v52
	v_addc_co_u32_e64 v89, s[2:3], v54, v53, s[2:3]
	global_load_dwordx4 v[52:55], v[88:89], off offset:1472
	global_load_dwordx4 v[56:59], v[88:89], off offset:1488
	global_load_dwordx4 v[60:63], v[88:89], off offset:1456
	global_load_dwordx4 v[64:67], v[88:89], off offset:1424
	global_load_dwordx4 v[68:71], v[88:89], off offset:1408
	global_load_dwordx4 v[72:75], v[88:89], off offset:1552
	global_load_dwordx4 v[76:79], v[88:89], off offset:1536
	global_load_dwordx4 v[80:83], v[88:89], off offset:1504
	global_load_dwordx4 v[84:87], v[88:89], off offset:1440
	global_load_dwordx4 v[97:100], v[88:89], off offset:1520
	s_mov_b32 s6, 0x9bcd5057
	s_mov_b32 s14, 0xfd768dbf
	;; [unrolled: 1-line block ×30, first 2 shown]
	s_waitcnt vmcnt(9)
	v_mul_f64 v[88:89], v[20:21], v[54:55]
	v_mul_f64 v[90:91], v[22:23], v[54:55]
	s_waitcnt vmcnt(8)
	v_mul_f64 v[101:102], v[24:25], v[58:59]
	v_mul_f64 v[58:59], v[26:27], v[58:59]
	s_waitcnt vmcnt(7)
	v_mul_f64 v[105:106], v[18:19], v[62:63]
	s_waitcnt vmcnt(5)
	;; [unrolled: 2-line block ×3, first 2 shown]
	v_mul_f64 v[111:112], v[40:41], v[74:75]
	v_mul_f64 v[103:104], v[16:17], v[62:63]
	;; [unrolled: 1-line block ×5, first 2 shown]
	s_waitcnt vmcnt(3)
	v_mul_f64 v[115:116], v[36:37], v[78:79]
	v_fma_f64 v[54:55], v[22:23], v[52:53], v[88:89]
	v_fma_f64 v[52:53], v[20:21], v[52:53], -v[90:91]
	v_fma_f64 v[24:25], v[24:25], v[56:57], -v[58:59]
	;; [unrolled: 1-line block ×3, first 2 shown]
	v_fma_f64 v[90:91], v[6:7], v[68:69], v[109:110]
	v_fma_f64 v[16:17], v[42:43], v[72:73], v[111:112]
	v_mul_f64 v[66:67], v[10:11], v[66:67]
	s_waitcnt vmcnt(2)
	v_mul_f64 v[117:118], v[28:29], v[82:83]
	v_mul_f64 v[119:120], v[38:39], v[78:79]
	;; [unrolled: 1-line block ×3, first 2 shown]
	s_waitcnt vmcnt(1)
	v_mul_f64 v[121:122], v[12:13], v[86:87]
	s_waitcnt vmcnt(0)
	v_mul_f64 v[123:124], v[32:33], v[99:100]
	v_mul_f64 v[86:87], v[14:15], v[86:87]
	v_fma_f64 v[62:63], v[18:19], v[60:61], v[103:104]
	v_fma_f64 v[78:79], v[10:11], v[64:65], v[107:108]
	v_fma_f64 v[88:89], v[4:5], v[68:69], -v[70:71]
	v_fma_f64 v[18:19], v[40:41], v[72:73], -v[113:114]
	v_fma_f64 v[22:23], v[38:39], v[76:77], v[115:116]
	v_add_f64 v[105:106], v[90:91], v[16:17]
	v_add_f64 v[111:112], v[90:91], -v[16:17]
	v_mul_f64 v[99:100], v[34:35], v[99:100]
	v_fma_f64 v[74:75], v[8:9], v[64:65], -v[66:67]
	v_fma_f64 v[20:21], v[36:37], v[76:77], -v[119:120]
	v_fma_f64 v[36:37], v[30:31], v[80:81], v[117:118]
	v_fma_f64 v[30:31], v[28:29], v[80:81], -v[82:83]
	v_fma_f64 v[80:81], v[14:15], v[84:85], v[121:122]
	;; [unrolled: 2-line block ×3, first 2 shown]
	v_add_f64 v[86:87], v[78:79], v[22:23]
	v_add_f64 v[109:110], v[88:89], -v[18:19]
	v_add_f64 v[82:83], v[78:79], -v[22:23]
	v_add_f64 v[113:114], v[88:89], v[18:19]
	v_mul_f64 v[4:5], v[105:106], s[6:7]
	v_mul_f64 v[6:7], v[111:112], s[16:17]
	v_fma_f64 v[12:13], v[32:33], v[97:98], -v[99:100]
	v_add_f64 v[72:73], v[74:75], -v[20:21]
	v_add_f64 v[64:65], v[74:75], v[20:21]
	v_add_f64 v[84:85], v[80:81], v[14:15]
	v_add_f64 v[70:71], v[80:81], -v[14:15]
	v_mul_f64 v[8:9], v[86:87], s[2:3]
	v_mul_f64 v[10:11], v[82:83], s[18:19]
	v_fma_f64 v[103:104], v[109:110], s[14:15], v[4:5]
	v_fma_f64 v[107:108], v[113:114], s[6:7], v[6:7]
	;; [unrolled: 1-line block ×3, first 2 shown]
	v_add_f64 v[66:67], v[76:77], -v[12:13]
	v_add_f64 v[42:43], v[76:77], v[12:13]
	v_add_f64 v[68:69], v[62:63], v[36:37]
	v_add_f64 v[56:57], v[62:63], -v[36:37]
	v_mul_f64 v[97:98], v[84:85], s[20:21]
	v_mul_f64 v[99:100], v[70:71], s[22:23]
	v_fma_f64 v[123:124], v[72:73], s[10:11], v[8:9]
	v_fma_f64 v[125:126], v[64:65], s[2:3], v[10:11]
	v_add_f64 v[103:104], v[2:3], v[103:104]
	v_add_f64 v[107:108], v[0:1], v[107:108]
	v_fma_f64 v[4:5], v[109:110], s[16:17], v[4:5]
	v_fma_f64 v[6:7], v[113:114], s[6:7], -v[6:7]
	v_add_f64 v[60:61], v[58:59], -v[30:31]
	v_add_f64 v[40:41], v[58:59], v[30:31]
	v_add_f64 v[34:35], v[54:55], v[26:27]
	v_add_f64 v[38:39], v[54:55], -v[26:27]
	v_mul_f64 v[101:102], v[68:69], s[26:27]
	v_mul_f64 v[115:116], v[56:57], s[38:39]
	;; [unrolled: 1-line block ×3, first 2 shown]
	v_fma_f64 v[8:9], v[72:73], s[18:19], v[8:9]
	v_fma_f64 v[129:130], v[66:67], s[24:25], v[97:98]
	;; [unrolled: 1-line block ×3, first 2 shown]
	v_add_f64 v[103:104], v[123:124], v[103:104]
	v_add_f64 v[107:108], v[125:126], v[107:108]
	v_fma_f64 v[10:11], v[64:65], s[2:3], -v[10:11]
	v_add_f64 v[4:5], v[2:3], v[4:5]
	v_add_f64 v[6:7], v[0:1], v[6:7]
	v_add_f64 v[28:29], v[52:53], -v[24:25]
	v_add_f64 v[32:33], v[52:53], v[24:25]
	v_mul_f64 v[117:118], v[34:35], s[28:29]
	v_mul_f64 v[119:120], v[38:39], s[34:35]
	;; [unrolled: 1-line block ×3, first 2 shown]
	v_fma_f64 v[123:124], v[60:61], s[30:31], v[101:102]
	v_fma_f64 v[125:126], v[40:41], s[26:27], v[115:116]
	v_add_f64 v[103:104], v[129:130], v[103:104]
	v_add_f64 v[107:108], v[131:132], v[107:108]
	v_fma_f64 v[97:98], v[66:67], s[22:23], v[97:98]
	v_fma_f64 v[99:100], v[42:43], s[20:21], -v[99:100]
	v_add_f64 v[4:5], v[8:9], v[4:5]
	v_fma_f64 v[8:9], v[109:110], s[24:25], v[121:122]
	v_add_f64 v[6:7], v[10:11], v[6:7]
	v_fma_f64 v[133:134], v[28:29], s[36:37], v[117:118]
	v_fma_f64 v[10:11], v[32:33], s[28:29], v[119:120]
	v_add_f64 v[103:104], v[123:124], v[103:104]
	v_add_f64 v[107:108], v[125:126], v[107:108]
	v_fma_f64 v[101:102], v[60:61], s[38:39], v[101:102]
	v_fma_f64 v[115:116], v[40:41], s[26:27], -v[115:116]
	v_add_f64 v[97:98], v[97:98], v[4:5]
	v_add_f64 v[99:100], v[99:100], v[6:7]
	v_fma_f64 v[125:126], v[72:73], s[34:35], v[127:128]
	v_add_f64 v[8:9], v[2:3], v[8:9]
	v_mul_f64 v[129:130], v[84:85], s[2:3]
	v_mul_f64 v[123:124], v[111:112], s[22:23]
	v_add_f64 v[6:7], v[133:134], v[103:104]
	v_add_f64 v[4:5], v[10:11], v[107:108]
	;; [unrolled: 1-line block ×3, first 2 shown]
	v_fma_f64 v[103:104], v[28:29], s[34:35], v[117:118]
	v_add_f64 v[99:100], v[115:116], v[99:100]
	v_add_f64 v[8:9], v[125:126], v[8:9]
	v_fma_f64 v[107:108], v[66:67], s[18:19], v[129:130]
	v_mul_f64 v[115:116], v[68:69], s[6:7]
	v_fma_f64 v[117:118], v[32:33], s[28:29], -v[119:120]
	v_mul_f64 v[101:102], v[82:83], s[36:37]
	v_fma_f64 v[97:98], v[113:114], s[20:21], v[123:124]
	v_add_f64 v[10:11], v[103:104], v[10:11]
	v_mul_f64 v[131:132], v[86:87], s[6:7]
	v_mul_f64 v[125:126], v[70:71], s[10:11]
	v_add_f64 v[103:104], v[107:108], v[8:9]
	v_fma_f64 v[107:108], v[109:110], s[22:23], v[121:122]
	v_fma_f64 v[121:122], v[60:61], s[14:15], v[115:116]
	v_add_f64 v[8:9], v[117:118], v[99:100]
	v_fma_f64 v[99:100], v[113:114], s[20:21], -v[123:124]
	v_fma_f64 v[119:120], v[64:65], s[28:29], v[101:102]
	v_fma_f64 v[101:102], v[64:65], s[28:29], -v[101:102]
	v_fma_f64 v[123:124], v[72:73], s[36:37], v[127:128]
	v_mul_f64 v[127:128], v[111:112], s[34:35]
	v_add_f64 v[107:108], v[2:3], v[107:108]
	v_add_f64 v[103:104], v[121:122], v[103:104]
	v_mul_f64 v[121:122], v[105:106], s[28:29]
	v_add_f64 v[99:100], v[0:1], v[99:100]
	v_add_f64 v[97:98], v[0:1], v[97:98]
	v_fma_f64 v[129:130], v[66:67], s[10:11], v[129:130]
	v_mul_f64 v[137:138], v[82:83], s[14:15]
	v_fma_f64 v[135:136], v[113:114], s[28:29], v[127:128]
	v_add_f64 v[107:108], v[123:124], v[107:108]
	v_fma_f64 v[139:140], v[72:73], s[16:17], v[131:132]
	v_mul_f64 v[141:142], v[84:85], s[26:27]
	v_add_f64 v[99:100], v[101:102], v[99:100]
	v_fma_f64 v[101:102], v[109:110], s[36:37], v[121:122]
	v_add_f64 v[97:98], v[119:120], v[97:98]
	v_fma_f64 v[117:118], v[42:43], s[2:3], v[125:126]
	v_mul_f64 v[119:120], v[56:57], s[16:17]
	v_fma_f64 v[125:126], v[42:43], s[2:3], -v[125:126]
	v_add_f64 v[135:136], v[0:1], v[135:136]
	v_fma_f64 v[143:144], v[64:65], s[6:7], v[137:138]
	v_mul_f64 v[145:146], v[70:71], s[38:39]
	v_add_f64 v[101:102], v[2:3], v[101:102]
	v_add_f64 v[107:108], v[129:130], v[107:108]
	v_fma_f64 v[115:116], v[60:61], s[16:17], v[115:116]
	v_mul_f64 v[147:148], v[68:69], s[2:3]
	v_add_f64 v[97:98], v[117:118], v[97:98]
	v_fma_f64 v[117:118], v[40:41], s[6:7], v[119:120]
	v_mul_f64 v[123:124], v[34:35], s[26:27]
	v_mul_f64 v[133:134], v[38:39], s[38:39]
	v_add_f64 v[101:102], v[139:140], v[101:102]
	v_fma_f64 v[139:140], v[66:67], s[30:31], v[141:142]
	v_add_f64 v[135:136], v[143:144], v[135:136]
	v_fma_f64 v[143:144], v[42:43], s[26:27], v[145:146]
	v_mul_f64 v[149:150], v[56:57], s[10:11]
	v_add_f64 v[99:100], v[125:126], v[99:100]
	v_fma_f64 v[119:120], v[40:41], s[6:7], -v[119:120]
	v_add_f64 v[107:108], v[115:116], v[107:108]
	v_fma_f64 v[115:116], v[60:61], s[18:19], v[147:148]
	v_add_f64 v[101:102], v[139:140], v[101:102]
	v_mul_f64 v[125:126], v[34:35], s[20:21]
	v_add_f64 v[97:98], v[117:118], v[97:98]
	v_fma_f64 v[117:118], v[28:29], s[30:31], v[123:124]
	v_fma_f64 v[129:130], v[32:33], s[26:27], v[133:134]
	v_add_f64 v[135:136], v[143:144], v[135:136]
	v_fma_f64 v[139:140], v[40:41], s[2:3], v[149:150]
	v_mul_f64 v[143:144], v[38:39], s[22:23]
	v_add_f64 v[119:120], v[119:120], v[99:100]
	v_fma_f64 v[123:124], v[28:29], s[38:39], v[123:124]
	v_fma_f64 v[133:134], v[32:33], s[26:27], -v[133:134]
	v_add_f64 v[115:116], v[115:116], v[101:102]
	v_fma_f64 v[151:152], v[28:29], s[24:25], v[125:126]
	v_add_f64 v[99:100], v[117:118], v[103:104]
	v_add_f64 v[117:118], v[139:140], v[135:136]
	v_fma_f64 v[135:136], v[32:33], s[20:21], v[143:144]
	v_add_f64 v[97:98], v[129:130], v[97:98]
	v_add_f64 v[103:104], v[123:124], v[107:108]
	v_mul_f64 v[123:124], v[105:106], s[26:27]
	v_add_f64 v[101:102], v[133:134], v[119:120]
	v_add_f64 v[107:108], v[151:152], v[115:116]
	v_mul_f64 v[115:116], v[105:106], s[2:3]
	v_mul_f64 v[119:120], v[111:112], s[30:31]
	v_mul_f64 v[111:112], v[111:112], s[10:11]
	v_add_f64 v[105:106], v[135:136], v[117:118]
	v_fma_f64 v[117:118], v[109:110], s[34:35], v[121:122]
	v_fma_f64 v[121:122], v[109:110], s[38:39], v[123:124]
	;; [unrolled: 1-line block ×3, first 2 shown]
	v_fma_f64 v[127:128], v[113:114], s[28:29], -v[127:128]
	v_fma_f64 v[129:130], v[109:110], s[18:19], v[115:116]
	v_fma_f64 v[133:134], v[113:114], s[26:27], v[119:120]
	;; [unrolled: 1-line block ×3, first 2 shown]
	v_fma_f64 v[115:116], v[113:114], s[26:27], -v[119:120]
	v_fma_f64 v[119:120], v[113:114], s[2:3], v[111:112]
	v_fma_f64 v[111:112], v[113:114], s[2:3], -v[111:112]
	v_add_f64 v[113:114], v[2:3], v[117:118]
	v_add_f64 v[117:118], v[0:1], v[127:128]
	;; [unrolled: 1-line block ×12, first 2 shown]
	v_mul_f64 v[133:134], v[86:87], s[20:21]
	v_fma_f64 v[131:132], v[72:73], s[14:15], v[131:132]
	v_mul_f64 v[139:140], v[84:85], s[6:7]
	v_mul_f64 v[86:87], v[86:87], s[26:27]
	v_fma_f64 v[135:136], v[64:65], s[6:7], -v[137:138]
	v_mul_f64 v[90:91], v[82:83], s[22:23]
	v_add_f64 v[2:3], v[2:3], v[78:79]
	v_add_f64 v[0:1], v[0:1], v[74:75]
	v_fma_f64 v[88:89], v[72:73], s[22:23], v[133:134]
	v_fma_f64 v[137:138], v[72:73], s[24:25], v[133:134]
	v_add_f64 v[113:114], v[131:132], v[113:114]
	v_fma_f64 v[131:132], v[66:67], s[38:39], v[141:142]
	v_add_f64 v[117:118], v[135:136], v[117:118]
	v_fma_f64 v[135:136], v[42:43], s[26:27], -v[145:146]
	v_add_f64 v[2:3], v[2:3], v[80:81]
	v_add_f64 v[0:1], v[0:1], v[76:77]
	v_add_f64 v[88:89], v[88:89], v[123:124]
	v_fma_f64 v[123:124], v[66:67], s[14:15], v[139:140]
	v_mul_f64 v[76:77], v[82:83], s[30:31]
	v_mul_f64 v[80:81], v[84:85], s[28:29]
	v_add_f64 v[121:122], v[137:138], v[121:122]
	v_fma_f64 v[137:138], v[66:67], s[16:17], v[139:140]
	v_add_f64 v[2:3], v[2:3], v[62:63]
	v_add_f64 v[0:1], v[0:1], v[58:59]
	v_fma_f64 v[62:63], v[72:73], s[30:31], v[86:87]
	v_mul_f64 v[141:142], v[68:69], s[28:29]
	v_add_f64 v[113:114], v[131:132], v[113:114]
	v_fma_f64 v[131:132], v[60:61], s[10:11], v[147:148]
	v_fma_f64 v[145:146], v[64:65], s[20:21], v[90:91]
	v_mul_f64 v[147:148], v[70:71], s[14:15]
	v_add_f64 v[2:3], v[2:3], v[54:55]
	v_add_f64 v[0:1], v[0:1], v[52:53]
	v_fma_f64 v[90:91], v[64:65], s[20:21], -v[90:91]
	v_add_f64 v[74:75], v[123:124], v[88:89]
	v_fma_f64 v[123:124], v[72:73], s[38:39], v[86:87]
	v_fma_f64 v[58:59], v[64:65], s[26:27], v[76:77]
	v_mul_f64 v[70:71], v[70:71], s[34:35]
	v_fma_f64 v[72:73], v[66:67], s[36:37], v[80:81]
	v_fma_f64 v[66:67], v[66:67], s[34:35], v[80:81]
	v_add_f64 v[54:55], v[62:63], v[109:110]
	v_add_f64 v[2:3], v[2:3], v[26:27]
	;; [unrolled: 1-line block ×3, first 2 shown]
	v_fma_f64 v[64:65], v[64:65], s[26:27], -v[76:77]
	v_mul_f64 v[133:134], v[56:57], s[36:37]
	v_add_f64 v[90:91], v[90:91], v[115:116]
	v_fma_f64 v[115:116], v[42:43], s[6:7], -v[147:148]
	v_fma_f64 v[88:89], v[60:61], s[36:37], v[141:142]
	v_add_f64 v[84:85], v[123:124], v[129:130]
	v_mul_f64 v[68:69], v[68:69], s[20:21]
	v_add_f64 v[52:53], v[58:59], v[119:120]
	v_fma_f64 v[58:59], v[42:43], s[28:29], v[70:71]
	v_add_f64 v[26:27], v[66:67], v[54:55]
	v_mul_f64 v[54:55], v[56:57], s[22:23]
	v_add_f64 v[2:3], v[2:3], v[36:37]
	v_add_f64 v[0:1], v[0:1], v[30:31]
	v_mul_f64 v[30:31], v[34:35], s[2:3]
	v_add_f64 v[113:114], v[131:132], v[113:114]
	v_fma_f64 v[131:132], v[42:43], s[6:7], v[147:148]
	v_fma_f64 v[42:43], v[42:43], s[28:29], -v[70:71]
	v_add_f64 v[56:57], v[64:65], v[111:112]
	v_add_f64 v[117:118], v[135:136], v[117:118]
	v_fma_f64 v[135:136], v[40:41], s[2:3], -v[149:150]
	v_add_f64 v[127:128], v[145:146], v[127:128]
	v_fma_f64 v[78:79], v[40:41], s[28:29], v[133:134]
	v_add_f64 v[90:91], v[115:116], v[90:91]
	v_fma_f64 v[115:116], v[40:41], s[28:29], -v[133:134]
	v_add_f64 v[74:75], v[88:89], v[74:75]
	v_add_f64 v[62:63], v[72:73], v[84:85]
	v_fma_f64 v[72:73], v[60:61], s[22:23], v[68:69]
	v_add_f64 v[52:53], v[58:59], v[52:53]
	v_fma_f64 v[58:59], v[40:41], s[20:21], v[54:55]
	v_fma_f64 v[40:41], v[40:41], s[20:21], -v[54:55]
	v_add_f64 v[54:55], v[2:3], v[14:15]
	v_add_f64 v[0:1], v[0:1], v[12:13]
	v_fma_f64 v[12:13], v[28:29], s[18:19], v[30:31]
	v_mul_f64 v[34:35], v[34:35], s[6:7]
	v_add_f64 v[42:43], v[42:43], v[56:57]
	v_mul_f64 v[56:57], v[38:39], s[18:19]
	v_mul_f64 v[38:39], v[38:39], s[16:17]
	v_fma_f64 v[36:37], v[28:29], s[22:23], v[125:126]
	v_add_f64 v[121:122], v[137:138], v[121:122]
	v_fma_f64 v[137:138], v[60:61], s[34:35], v[141:142]
	v_add_f64 v[127:128], v[131:132], v[127:128]
	;; [unrolled: 2-line block ×3, first 2 shown]
	v_add_f64 v[14:15], v[12:13], v[74:75]
	v_add_f64 v[12:13], v[54:55], v[22:23]
	v_fma_f64 v[22:23], v[28:29], s[16:17], v[34:35]
	v_add_f64 v[0:1], v[0:1], v[20:21]
	v_add_f64 v[40:41], v[40:41], v[42:43]
	v_fma_f64 v[42:43], v[32:33], s[2:3], v[56:57]
	v_fma_f64 v[54:55], v[32:33], s[2:3], -v[56:57]
	v_fma_f64 v[56:57], v[32:33], s[6:7], -v[38:39]
	v_add_f64 v[82:83], v[115:116], v[90:91]
	v_add_f64 v[117:118], v[135:136], v[117:118]
	;; [unrolled: 1-line block ×3, first 2 shown]
	v_fma_f64 v[36:37], v[32:33], s[20:21], -v[143:144]
	v_add_f64 v[121:122], v[137:138], v[121:122]
	v_add_f64 v[78:79], v[78:79], v[127:128]
	v_fma_f64 v[30:31], v[28:29], s[10:11], v[30:31]
	v_fma_f64 v[34:35], v[28:29], s[14:15], v[34:35]
	v_add_f64 v[60:61], v[24:25], v[62:63]
	v_fma_f64 v[38:39], v[32:33], s[6:7], v[38:39]
	v_add_f64 v[52:53], v[58:59], v[52:53]
	v_add_f64 v[20:21], v[22:23], v[26:27]
	;; [unrolled: 1-line block ×11, first 2 shown]
	ds_write_b128 v92, v[22:25]
	ds_write_b128 v92, v[18:21] offset:1440
	ds_write_b128 v92, v[12:15] offset:2880
	;; [unrolled: 1-line block ×10, first 2 shown]
.LBB0_23:
	s_or_b64 exec, exec, s[4:5]
	s_waitcnt lgkmcnt(0)
	s_barrier
	ds_read_b128 v[4:7], v92
	s_add_u32 s6, s8, 0x3dc0
	s_addc_u32 s7, s9, 0
	v_sub_u32_e32 v10, 0, v45
	v_cmp_ne_u32_e64 s[2:3], 0, v44
                                        ; implicit-def: $vgpr2_vgpr3
                                        ; implicit-def: $vgpr8_vgpr9
	s_and_saveexec_b64 s[4:5], s[2:3]
	s_xor_b64 s[4:5], exec, s[4:5]
	s_cbranch_execz .LBB0_25
; %bb.24:
	v_mov_b32_e32 v45, 0
	v_lshlrev_b64 v[0:1], 4, v[44:45]
	v_mov_b32_e32 v2, s7
	v_add_co_u32_e64 v0, s[2:3], s6, v0
	v_addc_co_u32_e64 v1, s[2:3], v2, v1, s[2:3]
	global_load_dwordx4 v[11:14], v[0:1], off
	ds_read_b128 v[0:3], v10 offset:15840
	s_waitcnt lgkmcnt(0)
	v_add_f64 v[8:9], v[4:5], -v[0:1]
	v_add_f64 v[15:16], v[6:7], v[2:3]
	v_add_f64 v[2:3], v[6:7], -v[2:3]
	v_add_f64 v[0:1], v[4:5], v[0:1]
	v_mul_f64 v[6:7], v[8:9], 0.5
	v_mul_f64 v[4:5], v[15:16], 0.5
	;; [unrolled: 1-line block ×3, first 2 shown]
	s_waitcnt vmcnt(0)
	v_mul_f64 v[8:9], v[6:7], v[13:14]
	v_fma_f64 v[15:16], v[4:5], v[13:14], v[2:3]
	v_fma_f64 v[2:3], v[4:5], v[13:14], -v[2:3]
	v_fma_f64 v[17:18], v[0:1], 0.5, v[8:9]
	v_fma_f64 v[0:1], v[0:1], 0.5, -v[8:9]
	v_fma_f64 v[8:9], -v[11:12], v[6:7], v[15:16]
	v_fma_f64 v[2:3], -v[11:12], v[6:7], v[2:3]
	v_fma_f64 v[13:14], v[4:5], v[11:12], v[17:18]
	v_fma_f64 v[0:1], -v[4:5], v[11:12], v[0:1]
                                        ; implicit-def: $vgpr4_vgpr5
	ds_write_b64 v92, v[13:14]
.LBB0_25:
	s_or_saveexec_b64 s[2:3], s[4:5]
	v_sub_u32_e32 v11, 0, v49
	v_sub_u32_e32 v12, 0, v95
	s_xor_b64 exec, exec, s[2:3]
	s_cbranch_execz .LBB0_27
; %bb.26:
	s_waitcnt lgkmcnt(0)
	v_add_f64 v[2:3], v[4:5], v[6:7]
	v_mov_b32_e32 v15, 0
	ds_read_b64 v[13:14], v15 offset:7928
	v_add_f64 v[0:1], v[4:5], -v[6:7]
	v_mov_b32_e32 v8, 0
	v_mov_b32_e32 v9, 0
	s_waitcnt lgkmcnt(0)
	v_xor_b32_e32 v14, 0x80000000, v14
	ds_write_b64 v15, v[13:14] offset:7928
	ds_write_b64 v92, v[2:3]
	v_mov_b32_e32 v2, v8
	v_mov_b32_e32 v3, v9
.LBB0_27:
	s_or_b64 exec, exec, s[2:3]
	v_mov_b32_e32 v49, 0
	s_waitcnt lgkmcnt(0)
	v_lshlrev_b64 v[4:5], 4, v[48:49]
	v_mov_b32_e32 v6, s7
	v_add_co_u32_e64 v4, s[2:3], s6, v4
	v_addc_co_u32_e64 v5, s[2:3], v6, v5, s[2:3]
	global_load_dwordx4 v[4:7], v[4:5], off
	v_mov_b32_e32 v52, v49
	v_lshlrev_b64 v[13:14], 4, v[51:52]
	v_mov_b32_e32 v15, s7
	v_add_co_u32_e64 v13, s[2:3], s6, v13
	v_addc_co_u32_e64 v14, s[2:3], v15, v14, s[2:3]
	global_load_dwordx4 v[13:16], v[13:14], off
	ds_write_b64 v92, v[8:9] offset:8
	ds_write_b128 v10, v[0:3] offset:15840
	ds_read_b128 v[0:3], v96
	ds_read_b128 v[17:20], v10 offset:14080
	v_mov_b32_e32 v51, v49
	v_mov_b32_e32 v29, s7
	v_add_u32_e32 v12, v94, v12
	s_waitcnt lgkmcnt(0)
	v_add_f64 v[8:9], v[0:1], -v[17:18]
	v_add_f64 v[21:22], v[2:3], v[19:20]
	v_add_f64 v[2:3], v[2:3], -v[19:20]
	v_add_f64 v[0:1], v[0:1], v[17:18]
	v_lshlrev_b64 v[17:18], 4, v[50:51]
	v_mul_f64 v[19:20], v[8:9], 0.5
	v_mul_f64 v[21:22], v[21:22], 0.5
	;; [unrolled: 1-line block ×3, first 2 shown]
	s_waitcnt vmcnt(1)
	v_mul_f64 v[8:9], v[19:20], v[6:7]
	v_fma_f64 v[23:24], v[21:22], v[6:7], v[2:3]
	v_fma_f64 v[6:7], v[21:22], v[6:7], -v[2:3]
	v_fma_f64 v[25:26], v[0:1], 0.5, v[8:9]
	v_fma_f64 v[27:28], v[0:1], 0.5, -v[8:9]
	v_add_co_u32_e64 v0, s[2:3], s6, v17
	v_addc_co_u32_e64 v1, s[2:3], v29, v18, s[2:3]
	global_load_dwordx4 v[0:3], v[0:1], off
	v_fma_f64 v[8:9], -v[4:5], v[19:20], v[23:24]
	v_fma_f64 v[19:20], -v[4:5], v[19:20], v[6:7]
	v_fma_f64 v[6:7], v[21:22], v[4:5], v[25:26]
	v_fma_f64 v[17:18], -v[21:22], v[4:5], v[27:28]
	ds_write_b128 v96, v[6:9]
	ds_write_b128 v10, v[17:20] offset:14080
	ds_read_b128 v[4:7], v12
	ds_read_b128 v[17:20], v10 offset:12320
	s_waitcnt lgkmcnt(0)
	v_add_f64 v[8:9], v[4:5], -v[17:18]
	v_add_f64 v[21:22], v[6:7], v[19:20]
	v_add_f64 v[6:7], v[6:7], -v[19:20]
	v_add_f64 v[4:5], v[4:5], v[17:18]
	v_mul_f64 v[8:9], v[8:9], 0.5
	v_mul_f64 v[19:20], v[21:22], 0.5
	;; [unrolled: 1-line block ×3, first 2 shown]
	s_waitcnt vmcnt(1)
	v_mul_f64 v[17:18], v[8:9], v[15:16]
	v_fma_f64 v[21:22], v[19:20], v[15:16], v[6:7]
	v_fma_f64 v[15:16], v[19:20], v[15:16], -v[6:7]
	v_fma_f64 v[23:24], v[4:5], 0.5, v[17:18]
	v_fma_f64 v[17:18], v[4:5], 0.5, -v[17:18]
	v_fma_f64 v[6:7], -v[13:14], v[8:9], v[21:22]
	v_fma_f64 v[15:16], -v[13:14], v[8:9], v[15:16]
	v_fma_f64 v[4:5], v[19:20], v[13:14], v[23:24]
	v_fma_f64 v[13:14], -v[19:20], v[13:14], v[17:18]
	v_add_u32_e32 v17, v93, v11
	ds_write_b128 v12, v[4:7]
	ds_write_b128 v10, v[13:16] offset:12320
	ds_read_b128 v[4:7], v17
	ds_read_b128 v[11:14], v10 offset:10560
	s_waitcnt lgkmcnt(0)
	v_add_f64 v[8:9], v[4:5], -v[11:12]
	v_add_f64 v[15:16], v[6:7], v[13:14]
	v_add_f64 v[6:7], v[6:7], -v[13:14]
	v_add_f64 v[4:5], v[4:5], v[11:12]
	v_mul_f64 v[8:9], v[8:9], 0.5
	v_mul_f64 v[13:14], v[15:16], 0.5
	;; [unrolled: 1-line block ×3, first 2 shown]
	s_waitcnt vmcnt(0)
	v_mul_f64 v[11:12], v[8:9], v[2:3]
	v_fma_f64 v[15:16], v[13:14], v[2:3], v[6:7]
	v_fma_f64 v[2:3], v[13:14], v[2:3], -v[6:7]
	v_fma_f64 v[6:7], v[4:5], 0.5, v[11:12]
	v_fma_f64 v[11:12], v[4:5], 0.5, -v[11:12]
	v_fma_f64 v[4:5], -v[0:1], v[8:9], v[15:16]
	v_fma_f64 v[8:9], -v[0:1], v[8:9], v[2:3]
	v_fma_f64 v[2:3], v[13:14], v[0:1], v[6:7]
	v_fma_f64 v[6:7], -v[13:14], v[0:1], v[11:12]
	ds_write_b128 v17, v[2:5]
	ds_write_b128 v10, v[6:9] offset:10560
	s_and_saveexec_b64 s[2:3], vcc
	s_cbranch_execz .LBB0_29
; %bb.28:
	v_add_u32_e32 v48, 0x1b8, v44
	v_lshlrev_b64 v[0:1], 4, v[48:49]
	v_mov_b32_e32 v2, s7
	v_add_co_u32_e32 v0, vcc, s6, v0
	v_addc_co_u32_e32 v1, vcc, v2, v1, vcc
	global_load_dwordx4 v[0:3], v[0:1], off
	ds_read_b128 v[4:7], v92 offset:7040
	ds_read_b128 v[11:14], v10 offset:8800
	s_waitcnt lgkmcnt(0)
	v_add_f64 v[8:9], v[4:5], -v[11:12]
	v_add_f64 v[15:16], v[6:7], v[13:14]
	v_add_f64 v[6:7], v[6:7], -v[13:14]
	v_add_f64 v[4:5], v[4:5], v[11:12]
	v_mul_f64 v[8:9], v[8:9], 0.5
	v_mul_f64 v[13:14], v[15:16], 0.5
	;; [unrolled: 1-line block ×3, first 2 shown]
	s_waitcnt vmcnt(0)
	v_mul_f64 v[11:12], v[8:9], v[2:3]
	v_fma_f64 v[15:16], v[13:14], v[2:3], v[6:7]
	v_fma_f64 v[2:3], v[13:14], v[2:3], -v[6:7]
	v_fma_f64 v[6:7], v[4:5], 0.5, v[11:12]
	v_fma_f64 v[11:12], v[4:5], 0.5, -v[11:12]
	v_fma_f64 v[4:5], -v[0:1], v[8:9], v[15:16]
	v_fma_f64 v[8:9], -v[0:1], v[8:9], v[2:3]
	v_fma_f64 v[2:3], v[13:14], v[0:1], v[6:7]
	v_fma_f64 v[6:7], -v[13:14], v[0:1], v[11:12]
	ds_write_b128 v92, v[2:5] offset:7040
	ds_write_b128 v10, v[6:9] offset:8800
.LBB0_29:
	s_or_b64 exec, exec, s[2:3]
	s_waitcnt lgkmcnt(0)
	s_barrier
	s_and_saveexec_b64 s[2:3], s[0:1]
	s_cbranch_execz .LBB0_32
; %bb.30:
	v_mov_b32_e32 v45, 0
	v_mov_b32_e32 v0, s13
	v_add_co_u32_e32 v1, vcc, s12, v46
	v_lshlrev_b64 v[14:15], 4, v[44:45]
	ds_read_b128 v[2:5], v92
	ds_read_b128 v[6:9], v92 offset:1760
	ds_read_b128 v[10:13], v92 offset:3520
	v_addc_co_u32_e32 v0, vcc, v0, v47, vcc
	v_add_co_u32_e32 v14, vcc, v1, v14
	v_addc_co_u32_e32 v15, vcc, v0, v15, vcc
	s_waitcnt lgkmcnt(2)
	global_store_dwordx4 v[14:15], v[2:5], off
	s_waitcnt lgkmcnt(1)
	global_store_dwordx4 v[14:15], v[6:9], off offset:1760
	ds_read_b128 v[2:5], v92 offset:5280
	ds_read_b128 v[6:9], v92 offset:7040
	s_movk_i32 s0, 0x1000
	s_waitcnt lgkmcnt(2)
	global_store_dwordx4 v[14:15], v[10:13], off offset:3520
	s_nop 0
	v_add_co_u32_e32 v10, vcc, s0, v14
	v_addc_co_u32_e32 v11, vcc, 0, v15, vcc
	s_waitcnt lgkmcnt(1)
	global_store_dwordx4 v[10:11], v[2:5], off offset:1184
	ds_read_b128 v[2:5], v92 offset:8800
	s_waitcnt lgkmcnt(1)
	global_store_dwordx4 v[10:11], v[6:9], off offset:2944
	ds_read_b128 v[6:9], v92 offset:10560
	s_movk_i32 s0, 0x2000
	v_add_co_u32_e32 v10, vcc, s0, v14
	v_addc_co_u32_e32 v11, vcc, 0, v15, vcc
	s_waitcnt lgkmcnt(1)
	global_store_dwordx4 v[10:11], v[2:5], off offset:608
	ds_read_b128 v[2:5], v92 offset:12320
	s_waitcnt lgkmcnt(1)
	global_store_dwordx4 v[10:11], v[6:9], off offset:2368
	ds_read_b128 v[6:9], v92 offset:14080
	v_add_co_u32_e32 v10, vcc, 0x3000, v14
	v_addc_co_u32_e32 v11, vcc, 0, v15, vcc
	s_movk_i32 s0, 0x6d
	v_cmp_eq_u32_e32 vcc, s0, v44
	s_waitcnt lgkmcnt(1)
	global_store_dwordx4 v[10:11], v[2:5], off offset:32
	s_waitcnt lgkmcnt(0)
	global_store_dwordx4 v[10:11], v[6:9], off offset:1792
	s_and_b64 exec, exec, vcc
	s_cbranch_execz .LBB0_32
; %bb.31:
	ds_read_b128 v[2:5], v45 offset:15840
	v_add_co_u32_e32 v6, vcc, 0x3000, v1
	v_addc_co_u32_e32 v7, vcc, 0, v0, vcc
	s_waitcnt lgkmcnt(0)
	global_store_dwordx4 v[6:7], v[2:5], off offset:3552
.LBB0_32:
	s_endpgm
	.section	.rodata,"a",@progbits
	.p2align	6, 0x0
	.amdhsa_kernel fft_rtc_fwd_len990_factors_2_3_3_5_11_wgs_110_tpt_110_dp_ip_CI_unitstride_sbrr_R2C_dirReg
		.amdhsa_group_segment_fixed_size 0
		.amdhsa_private_segment_fixed_size 0
		.amdhsa_kernarg_size 88
		.amdhsa_user_sgpr_count 6
		.amdhsa_user_sgpr_private_segment_buffer 1
		.amdhsa_user_sgpr_dispatch_ptr 0
		.amdhsa_user_sgpr_queue_ptr 0
		.amdhsa_user_sgpr_kernarg_segment_ptr 1
		.amdhsa_user_sgpr_dispatch_id 0
		.amdhsa_user_sgpr_flat_scratch_init 0
		.amdhsa_user_sgpr_private_segment_size 0
		.amdhsa_uses_dynamic_stack 0
		.amdhsa_system_sgpr_private_segment_wavefront_offset 0
		.amdhsa_system_sgpr_workgroup_id_x 1
		.amdhsa_system_sgpr_workgroup_id_y 0
		.amdhsa_system_sgpr_workgroup_id_z 0
		.amdhsa_system_sgpr_workgroup_info 0
		.amdhsa_system_vgpr_workitem_id 0
		.amdhsa_next_free_vgpr 153
		.amdhsa_next_free_sgpr 40
		.amdhsa_reserve_vcc 1
		.amdhsa_reserve_flat_scratch 0
		.amdhsa_float_round_mode_32 0
		.amdhsa_float_round_mode_16_64 0
		.amdhsa_float_denorm_mode_32 3
		.amdhsa_float_denorm_mode_16_64 3
		.amdhsa_dx10_clamp 1
		.amdhsa_ieee_mode 1
		.amdhsa_fp16_overflow 0
		.amdhsa_exception_fp_ieee_invalid_op 0
		.amdhsa_exception_fp_denorm_src 0
		.amdhsa_exception_fp_ieee_div_zero 0
		.amdhsa_exception_fp_ieee_overflow 0
		.amdhsa_exception_fp_ieee_underflow 0
		.amdhsa_exception_fp_ieee_inexact 0
		.amdhsa_exception_int_div_zero 0
	.end_amdhsa_kernel
	.text
.Lfunc_end0:
	.size	fft_rtc_fwd_len990_factors_2_3_3_5_11_wgs_110_tpt_110_dp_ip_CI_unitstride_sbrr_R2C_dirReg, .Lfunc_end0-fft_rtc_fwd_len990_factors_2_3_3_5_11_wgs_110_tpt_110_dp_ip_CI_unitstride_sbrr_R2C_dirReg
                                        ; -- End function
	.section	.AMDGPU.csdata,"",@progbits
; Kernel info:
; codeLenInByte = 10012
; NumSgprs: 44
; NumVgprs: 153
; ScratchSize: 0
; MemoryBound: 0
; FloatMode: 240
; IeeeMode: 1
; LDSByteSize: 0 bytes/workgroup (compile time only)
; SGPRBlocks: 5
; VGPRBlocks: 38
; NumSGPRsForWavesPerEU: 44
; NumVGPRsForWavesPerEU: 153
; Occupancy: 1
; WaveLimiterHint : 1
; COMPUTE_PGM_RSRC2:SCRATCH_EN: 0
; COMPUTE_PGM_RSRC2:USER_SGPR: 6
; COMPUTE_PGM_RSRC2:TRAP_HANDLER: 0
; COMPUTE_PGM_RSRC2:TGID_X_EN: 1
; COMPUTE_PGM_RSRC2:TGID_Y_EN: 0
; COMPUTE_PGM_RSRC2:TGID_Z_EN: 0
; COMPUTE_PGM_RSRC2:TIDIG_COMP_CNT: 0
	.type	__hip_cuid_fdef28ffe138475,@object ; @__hip_cuid_fdef28ffe138475
	.section	.bss,"aw",@nobits
	.globl	__hip_cuid_fdef28ffe138475
__hip_cuid_fdef28ffe138475:
	.byte	0                               ; 0x0
	.size	__hip_cuid_fdef28ffe138475, 1

	.ident	"AMD clang version 19.0.0git (https://github.com/RadeonOpenCompute/llvm-project roc-6.4.0 25133 c7fe45cf4b819c5991fe208aaa96edf142730f1d)"
	.section	".note.GNU-stack","",@progbits
	.addrsig
	.addrsig_sym __hip_cuid_fdef28ffe138475
	.amdgpu_metadata
---
amdhsa.kernels:
  - .args:
      - .actual_access:  read_only
        .address_space:  global
        .offset:         0
        .size:           8
        .value_kind:     global_buffer
      - .offset:         8
        .size:           8
        .value_kind:     by_value
      - .actual_access:  read_only
        .address_space:  global
        .offset:         16
        .size:           8
        .value_kind:     global_buffer
      - .actual_access:  read_only
        .address_space:  global
        .offset:         24
        .size:           8
        .value_kind:     global_buffer
      - .offset:         32
        .size:           8
        .value_kind:     by_value
      - .actual_access:  read_only
        .address_space:  global
        .offset:         40
        .size:           8
        .value_kind:     global_buffer
      - .actual_access:  read_only
        .address_space:  global
        .offset:         48
        .size:           8
        .value_kind:     global_buffer
      - .offset:         56
        .size:           4
        .value_kind:     by_value
      - .actual_access:  read_only
        .address_space:  global
        .offset:         64
        .size:           8
        .value_kind:     global_buffer
      - .actual_access:  read_only
        .address_space:  global
        .offset:         72
        .size:           8
        .value_kind:     global_buffer
      - .address_space:  global
        .offset:         80
        .size:           8
        .value_kind:     global_buffer
    .group_segment_fixed_size: 0
    .kernarg_segment_align: 8
    .kernarg_segment_size: 88
    .language:       OpenCL C
    .language_version:
      - 2
      - 0
    .max_flat_workgroup_size: 110
    .name:           fft_rtc_fwd_len990_factors_2_3_3_5_11_wgs_110_tpt_110_dp_ip_CI_unitstride_sbrr_R2C_dirReg
    .private_segment_fixed_size: 0
    .sgpr_count:     44
    .sgpr_spill_count: 0
    .symbol:         fft_rtc_fwd_len990_factors_2_3_3_5_11_wgs_110_tpt_110_dp_ip_CI_unitstride_sbrr_R2C_dirReg.kd
    .uniform_work_group_size: 1
    .uses_dynamic_stack: false
    .vgpr_count:     153
    .vgpr_spill_count: 0
    .wavefront_size: 64
amdhsa.target:   amdgcn-amd-amdhsa--gfx906
amdhsa.version:
  - 1
  - 2
...

	.end_amdgpu_metadata
